;; amdgpu-corpus repo=ROCm/rocm-libraries kind=compiled arch=gfx1250 opt=O3
	.amdgcn_target "amdgcn-amd-amdhsa--gfx1250"
	.amdhsa_code_object_version 6
	.section	.text._Z18row_scatter_gatherILi8ELi256ELi256ELi8EiDF16_EvPKT3_S2_PKT4_PS3_iii,"axG",@progbits,_Z18row_scatter_gatherILi8ELi256ELi256ELi8EiDF16_EvPKT3_S2_PKT4_PS3_iii,comdat
	.protected	_Z18row_scatter_gatherILi8ELi256ELi256ELi8EiDF16_EvPKT3_S2_PKT4_PS3_iii ; -- Begin function _Z18row_scatter_gatherILi8ELi256ELi256ELi8EiDF16_EvPKT3_S2_PKT4_PS3_iii
	.globl	_Z18row_scatter_gatherILi8ELi256ELi256ELi8EiDF16_EvPKT3_S2_PKT4_PS3_iii
	.p2align	8
	.type	_Z18row_scatter_gatherILi8ELi256ELi256ELi8EiDF16_EvPKT3_S2_PKT4_PS3_iii,@function
_Z18row_scatter_gatherILi8ELi256ELi256ELi8EiDF16_EvPKT3_S2_PKT4_PS3_iii: ; @_Z18row_scatter_gatherILi8ELi256ELi256ELi8EiDF16_EvPKT3_S2_PKT4_PS3_iii
; %bb.0:
	s_load_b32 s12, s[0:1], 0x28
	v_readfirstlane_b32 s2, v0
	s_wait_kmcnt 0x0
	s_cmp_lt_i32 s12, 1
	s_cbranch_scc1 .LBB0_3
; %bb.1:
	s_load_b256 s[4:11], s[0:1], 0x0
	s_bfe_u32 s3, ttmp6, 0x4000c
	s_and_b32 s13, ttmp6, 15
	s_add_co_i32 s3, s3, 1
	s_getreg_b32 s14, hwreg(HW_REG_IB_STS2, 6, 4)
	s_mul_i32 s3, ttmp9, s3
	s_lshr_b32 s2, s2, 5
	s_add_co_i32 s13, s13, s3
	s_cmp_eq_u32 s14, 0
	s_wait_xcnt 0x0
	s_load_b32 s0, s[0:1], 0x20
	s_cselect_b32 s3, ttmp9, s13
	s_mov_b32 s13, 0
	s_lshl_b32 s3, s3, 3
	s_delay_alu instid0(SALU_CYCLE_1) | instskip(NEXT) | instid1(SALU_CYCLE_1)
	s_add_co_i32 s2, s2, s3
	v_mov_b32_e32 v0, s2
	s_add_co_i32 s2, s12, -1
	s_wait_kmcnt 0x0
	s_clause 0x1
	global_load_b32 v2, v0, s[4:5] scale_offset
	global_load_b32 v3, v0, s[6:7] scale_offset
	s_ashr_i32 s3, s2, 31
	s_wait_xcnt 0x0
	s_mov_b32 s7, s13
	s_add_co_i32 s0, s0, -1
	s_delay_alu instid0(SALU_CYCLE_1) | instskip(NEXT) | instid1(SALU_CYCLE_1)
	s_ashr_i32 s1, s0, 31
	s_mul_u64 s[0:1], s[0:1], s[12:13]
	s_delay_alu instid0(SALU_CYCLE_1) | instskip(SKIP_2) | instid1(SALU_CYCLE_1)
	s_add_nc_u64 s[0:1], s[0:1], s[2:3]
	s_mov_b32 s3, s13
	s_add_nc_u64 s[0:1], s[0:1], 1
	v_min_i64 v[0:1], 0x7fffffff, s[0:1]
	v_mbcnt_lo_u32_b32 v1, -1, 0
	s_mov_b32 s0, s8
	s_delay_alu instid0(VALU_DEP_1) | instskip(NEXT) | instid1(VALU_DEP_3)
	v_lshlrev_b32_e32 v1, 4, v1
	v_readfirstlane_b32 s1, v0
	s_lshl_b32 s4, s1, 26
	s_bfe_u32 s2, s1, 0x190006
	s_or_b32 s1, s4, s9
	s_or_b32 s5, s4, s11
	s_mov_b32 s4, s10
	s_mov_b32 s6, s2
	s_wait_loadcnt 0x1
	v_mul_lo_u32 v2, v2, s12
	s_wait_loadcnt 0x0
	v_mul_lo_u32 v3, v3, s12
	s_delay_alu instid0(VALU_DEP_2) | instskip(NEXT) | instid1(VALU_DEP_2)
	v_lshl_add_u32 v0, v2, 1, v1
	v_lshl_add_u32 v1, v3, 1, v1
.LBB0_2:                                ; =>This Inner Loop Header: Depth=1
	buffer_load_b128 v[2:5], v0, s[0:3], null offen
	s_wait_xcnt 0x0
	v_add_nc_u32_e32 v0, 0x200, v0
	s_addk_co_i32 s13, 0x100
	s_delay_alu instid0(SALU_CYCLE_1)
	s_cmp_ge_i32 s13, s12
	s_wait_loadcnt 0x0
	buffer_store_b128 v[2:5], v1, s[4:7], null offen
	s_wait_xcnt 0x0
	v_add_nc_u32_e32 v1, 0x200, v1
	s_cbranch_scc0 .LBB0_2
.LBB0_3:
	s_endpgm
	.section	.rodata,"a",@progbits
	.p2align	6, 0x0
	.amdhsa_kernel _Z18row_scatter_gatherILi8ELi256ELi256ELi8EiDF16_EvPKT3_S2_PKT4_PS3_iii
		.amdhsa_group_segment_fixed_size 0
		.amdhsa_private_segment_fixed_size 0
		.amdhsa_kernarg_size 44
		.amdhsa_user_sgpr_count 2
		.amdhsa_user_sgpr_dispatch_ptr 0
		.amdhsa_user_sgpr_queue_ptr 0
		.amdhsa_user_sgpr_kernarg_segment_ptr 1
		.amdhsa_user_sgpr_dispatch_id 0
		.amdhsa_user_sgpr_kernarg_preload_length 0
		.amdhsa_user_sgpr_kernarg_preload_offset 0
		.amdhsa_user_sgpr_private_segment_size 0
		.amdhsa_wavefront_size32 1
		.amdhsa_uses_dynamic_stack 0
		.amdhsa_enable_private_segment 0
		.amdhsa_system_sgpr_workgroup_id_x 1
		.amdhsa_system_sgpr_workgroup_id_y 0
		.amdhsa_system_sgpr_workgroup_id_z 0
		.amdhsa_system_sgpr_workgroup_info 0
		.amdhsa_system_vgpr_workitem_id 0
		.amdhsa_next_free_vgpr 6
		.amdhsa_next_free_sgpr 15
		.amdhsa_named_barrier_count 0
		.amdhsa_reserve_vcc 0
		.amdhsa_float_round_mode_32 0
		.amdhsa_float_round_mode_16_64 0
		.amdhsa_float_denorm_mode_32 3
		.amdhsa_float_denorm_mode_16_64 3
		.amdhsa_fp16_overflow 0
		.amdhsa_memory_ordered 1
		.amdhsa_forward_progress 1
		.amdhsa_inst_pref_size 3
		.amdhsa_round_robin_scheduling 0
		.amdhsa_exception_fp_ieee_invalid_op 0
		.amdhsa_exception_fp_denorm_src 0
		.amdhsa_exception_fp_ieee_div_zero 0
		.amdhsa_exception_fp_ieee_overflow 0
		.amdhsa_exception_fp_ieee_underflow 0
		.amdhsa_exception_fp_ieee_inexact 0
		.amdhsa_exception_int_div_zero 0
	.end_amdhsa_kernel
	.section	.text._Z18row_scatter_gatherILi8ELi256ELi256ELi8EiDF16_EvPKT3_S2_PKT4_PS3_iii,"axG",@progbits,_Z18row_scatter_gatherILi8ELi256ELi256ELi8EiDF16_EvPKT3_S2_PKT4_PS3_iii,comdat
.Lfunc_end0:
	.size	_Z18row_scatter_gatherILi8ELi256ELi256ELi8EiDF16_EvPKT3_S2_PKT4_PS3_iii, .Lfunc_end0-_Z18row_scatter_gatherILi8ELi256ELi256ELi8EiDF16_EvPKT3_S2_PKT4_PS3_iii
                                        ; -- End function
	.set _Z18row_scatter_gatherILi8ELi256ELi256ELi8EiDF16_EvPKT3_S2_PKT4_PS3_iii.num_vgpr, 6
	.set _Z18row_scatter_gatherILi8ELi256ELi256ELi8EiDF16_EvPKT3_S2_PKT4_PS3_iii.num_agpr, 0
	.set _Z18row_scatter_gatherILi8ELi256ELi256ELi8EiDF16_EvPKT3_S2_PKT4_PS3_iii.numbered_sgpr, 15
	.set _Z18row_scatter_gatherILi8ELi256ELi256ELi8EiDF16_EvPKT3_S2_PKT4_PS3_iii.num_named_barrier, 0
	.set _Z18row_scatter_gatherILi8ELi256ELi256ELi8EiDF16_EvPKT3_S2_PKT4_PS3_iii.private_seg_size, 0
	.set _Z18row_scatter_gatherILi8ELi256ELi256ELi8EiDF16_EvPKT3_S2_PKT4_PS3_iii.uses_vcc, 0
	.set _Z18row_scatter_gatherILi8ELi256ELi256ELi8EiDF16_EvPKT3_S2_PKT4_PS3_iii.uses_flat_scratch, 0
	.set _Z18row_scatter_gatherILi8ELi256ELi256ELi8EiDF16_EvPKT3_S2_PKT4_PS3_iii.has_dyn_sized_stack, 0
	.set _Z18row_scatter_gatherILi8ELi256ELi256ELi8EiDF16_EvPKT3_S2_PKT4_PS3_iii.has_recursion, 0
	.set _Z18row_scatter_gatherILi8ELi256ELi256ELi8EiDF16_EvPKT3_S2_PKT4_PS3_iii.has_indirect_call, 0
	.section	.AMDGPU.csdata,"",@progbits
; Kernel info:
; codeLenInByte = 364
; TotalNumSgprs: 15
; NumVgprs: 6
; ScratchSize: 0
; MemoryBound: 0
; FloatMode: 240
; IeeeMode: 1
; LDSByteSize: 0 bytes/workgroup (compile time only)
; SGPRBlocks: 0
; VGPRBlocks: 0
; NumSGPRsForWavesPerEU: 15
; NumVGPRsForWavesPerEU: 6
; NamedBarCnt: 0
; Occupancy: 16
; WaveLimiterHint : 0
; COMPUTE_PGM_RSRC2:SCRATCH_EN: 0
; COMPUTE_PGM_RSRC2:USER_SGPR: 2
; COMPUTE_PGM_RSRC2:TRAP_HANDLER: 0
; COMPUTE_PGM_RSRC2:TGID_X_EN: 1
; COMPUTE_PGM_RSRC2:TGID_Y_EN: 0
; COMPUTE_PGM_RSRC2:TGID_Z_EN: 0
; COMPUTE_PGM_RSRC2:TIDIG_COMP_CNT: 0
	.section	.AMDGPU.gpr_maximums,"",@progbits
	.set amdgpu.max_num_vgpr, 0
	.set amdgpu.max_num_agpr, 0
	.set amdgpu.max_num_sgpr, 0
	.section	.AMDGPU.csdata,"",@progbits
	.type	__hip_cuid_9a75bc95070498c2,@object ; @__hip_cuid_9a75bc95070498c2
	.section	.bss,"aw",@nobits
	.globl	__hip_cuid_9a75bc95070498c2
__hip_cuid_9a75bc95070498c2:
	.byte	0                               ; 0x0
	.size	__hip_cuid_9a75bc95070498c2, 1

	.ident	"AMD clang version 22.0.0git (https://github.com/RadeonOpenCompute/llvm-project roc-7.2.4 26084 f58b06dce1f9c15707c5f808fd002e18c2accf7e)"
	.section	".note.GNU-stack","",@progbits
	.addrsig
	.addrsig_sym __hip_cuid_9a75bc95070498c2
	.amdgpu_metadata
---
amdhsa.kernels:
  - .args:
      - .address_space:  global
        .offset:         0
        .size:           8
        .value_kind:     global_buffer
      - .address_space:  global
        .offset:         8
        .size:           8
        .value_kind:     global_buffer
      - .address_space:  global
        .offset:         16
        .size:           8
        .value_kind:     global_buffer
      - .address_space:  global
        .offset:         24
        .size:           8
        .value_kind:     global_buffer
      - .offset:         32
        .size:           4
        .value_kind:     by_value
      - .offset:         36
        .size:           4
        .value_kind:     by_value
      - .offset:         40
        .size:           4
        .value_kind:     by_value
    .group_segment_fixed_size: 0
    .kernarg_segment_align: 8
    .kernarg_segment_size: 44
    .language:       OpenCL C
    .language_version:
      - 2
      - 0
    .max_flat_workgroup_size: 1024
    .name:           _Z18row_scatter_gatherILi8ELi256ELi256ELi8EiDF16_EvPKT3_S2_PKT4_PS3_iii
    .private_segment_fixed_size: 0
    .sgpr_count:     15
    .sgpr_spill_count: 0
    .symbol:         _Z18row_scatter_gatherILi8ELi256ELi256ELi8EiDF16_EvPKT3_S2_PKT4_PS3_iii.kd
    .uniform_work_group_size: 1
    .uses_dynamic_stack: false
    .vgpr_count:     6
    .vgpr_spill_count: 0
    .wavefront_size: 32
amdhsa.target:   amdgcn-amd-amdhsa--gfx1250
amdhsa.version:
  - 1
  - 2
...

	.end_amdgpu_metadata
